;; amdgpu-corpus repo=llvm/llvm-project kind=harvested arch=n/a opt=n/a
// NOTE: Assertions have been autogenerated by utils/update_mc_test_checks.py UTC_ARGS: --unique --sort --version 6
// RUN: llvm-mc -triple=amdgcn -mcpu=gfx950 -show-encoding %s | FileCheck -check-prefix=GFX950 %s
// RUN: not llvm-mc -triple=amdgcn -mcpu=gfx942 -filetype=null %s 2>&1 | FileCheck -check-prefix=ERR %s
// RUN: not llvm-mc -triple=amdgcn -mcpu=gfx803 -filetype=null %s 2>&1 | FileCheck -check-prefix=ERR %s
// RUN: not llvm-mc -triple=amdgcn -mcpu=gfx1030 -filetype=null %s 2>&1 | FileCheck -check-prefix=ERR %s


	;; [unrolled: 1-line block ×3, first 2 shown]
// FIXME: Bad diagnostics on unsupported subtarget

buffer_load_dwordx3 off, s[8:11], s3 lds
// ERR: :[[@LINE-1]]:21: error: invalid operand for instruction
// GFX950: buffer_load_dwordx3 off, s[8:11], s3 lds ; encoding: [0x00,0x00,0x59,0xe0,0x00,0x00,0x02,0x03]

buffer_load_dwordx3 off, s[8:11], s3 offset:4095 lds
// ERR: :[[@LINE-1]]:38: error: not a valid operand.
// GFX950: buffer_load_dwordx3 off, s[8:11], s3 offset:4095 lds ; encoding: [0xff,0x0f,0x59,0xe0,0x00,0x00,0x02,0x03]

buffer_load_dwordx3 v0, s[8:11], s101 offen lds
// ERR: :[[@LINE-1]]:39: error: invalid operand for instruction
// GFX950: buffer_load_dwordx3 v0, s[8:11], s101 offen lds ; encoding: [0x00,0x10,0x59,0xe0,0x00,0x00,0x02,0x65]

buffer_load_dwordx4 off, s[8:11], s3 lds
// ERR: :[[@LINE-1]]:21: error: invalid operand for instruction
// GFX950: buffer_load_dwordx4 off, s[8:11], s3 lds ; encoding: [0x00,0x00,0x5d,0xe0,0x00,0x00,0x02,0x03]

buffer_load_dwordx4 off, s[8:11], s3 offset:4095 lds
// ERR: :[[@LINE-1]]:38: error: not a valid operand.
// GFX950: buffer_load_dwordx4 off, s[8:11], s3 offset:4095 lds ; encoding: [0xff,0x0f,0x5d,0xe0,0x00,0x00,0x02,0x03]

buffer_load_dwordx4 v0, s[8:11], s101 offen lds
// ERR: :[[@LINE-1]]:39: error: invalid operand for instruction
// GFX950: buffer_load_dwordx4 v0, s[8:11], s101 offen lds ; encoding: [0x00,0x10,0x5d,0xe0,0x00,0x00,0x02,0x65]
